;; amdgpu-corpus repo=zjin-lcf/HeCBench kind=compiled arch=gfx1250 opt=O3
	.amdgcn_target "amdgcn-amd-amdhsa--gfx1250"
	.amdhsa_code_object_version 6
	.section	.text._Z13sigmas_kernelIifEvPKT0_PS0_ffifT_i,"axG",@progbits,_Z13sigmas_kernelIifEvPKT0_PS0_ffifT_i,comdat
	.protected	_Z13sigmas_kernelIifEvPKT0_PS0_ffifT_i ; -- Begin function _Z13sigmas_kernelIifEvPKT0_PS0_ffifT_i
	.globl	_Z13sigmas_kernelIifEvPKT0_PS0_ffifT_i
	.p2align	8
	.type	_Z13sigmas_kernelIifEvPKT0_PS0_ffifT_i,@function
_Z13sigmas_kernelIifEvPKT0_PS0_ffifT_i: ; @_Z13sigmas_kernelIifEvPKT0_PS0_ffifT_i
; %bb.0:
	s_clause 0x1
	s_load_b32 s2, s[0:1], 0x34
	s_load_b128 s[4:7], s[0:1], 0x14
	s_bfe_u32 s3, ttmp6, 0x4000c
	s_and_b32 s8, ttmp6, 15
	s_add_co_i32 s3, s3, 1
	s_getreg_b32 s9, hwreg(HW_REG_IB_STS2, 6, 4)
	s_mul_i32 s3, ttmp9, s3
	s_delay_alu instid0(SALU_CYCLE_1) | instskip(SKIP_4) | instid1(SALU_CYCLE_1)
	s_add_co_i32 s8, s8, s3
	s_wait_kmcnt 0x0
	s_and_b32 s2, s2, 0xffff
	s_cmp_eq_u32 s9, 0
	s_cselect_b32 s3, ttmp9, s8
	v_mad_u32 v0, s3, s2, v0
	s_mov_b32 s2, exec_lo
	s_delay_alu instid0(VALU_DEP_1)
	v_cmpx_gt_i32_e64 s7, v0
	s_cbranch_execz .LBB0_25
; %bb.1:
	s_load_b32 s2, s[0:1], 0x24
	s_cmp_lt_i32 s5, 1
	s_cbranch_scc1 .LBB0_25
; %bb.2:
	s_wait_kmcnt 0x0
	v_mul_lo_u32 v0, v0, s2
	s_load_b128 s[8:11], s[0:1], 0x0
	v_mov_b32_e32 v10, 0x7f800000
	v_mov_b32_e32 v9, 0xff800000
	s_cmp_gt_i32 s2, 0
	s_mov_b32 s3, 0
	s_wait_xcnt 0x0
	s_cselect_b32 s1, -1, 0
	s_mov_b32 s7, 0
	s_delay_alu instid0(VALU_DEP_3) | instskip(NEXT) | instid1(VALU_DEP_1)
	v_dual_mov_b32 v8, 1.0 :: v_dual_ashrrev_i32 v1, 31, v0
	v_lshlrev_b64_e32 v[2:3], 2, v[0:1]
	s_wait_kmcnt 0x0
	s_delay_alu instid0(VALU_DEP_1)
	v_add_nc_u64_e32 v[0:1], s[8:9], v[2:3]
	v_add_nc_u64_e32 v[2:3], s[10:11], v[2:3]
	s_branch .LBB0_6
.LBB0_3:                                ;   in Loop: Header=BB0_6 Depth=1
	s_or_b32 exec_lo, exec_lo, s9
	v_dual_mov_b32 v5, v10 :: v_dual_mov_b32 v9, v8
.LBB0_4:                                ;   in Loop: Header=BB0_6 Depth=1
	s_or_b32 exec_lo, exec_lo, s8
	s_add_co_i32 s7, s7, 1
	s_delay_alu instid0(VALU_DEP_1) | instskip(SKIP_2) | instid1(SALU_CYCLE_1)
	v_dual_mov_b32 v8, v4 :: v_dual_mov_b32 v10, v5
	s_cmp_eq_u32 s7, s5
	s_cselect_b32 s8, -1, 0
	s_or_not1_b32 s8, s8, exec_lo
.LBB0_5:                                ;   in Loop: Header=BB0_6 Depth=1
	s_or_b32 exec_lo, exec_lo, s0
	s_delay_alu instid0(SALU_CYCLE_1) | instskip(NEXT) | instid1(SALU_CYCLE_1)
	s_and_b32 s0, exec_lo, s8
	s_or_b32 s3, s0, s3
	s_delay_alu instid0(SALU_CYCLE_1)
	s_and_not1_b32 exec_lo, exec_lo, s3
	s_cbranch_execz .LBB0_25
.LBB0_6:                                ; =>This Loop Header: Depth=1
                                        ;     Child Loop BB0_8 Depth 2
                                        ;     Child Loop BB0_11 Depth 2
	v_bfrev_b32_e32 v11, 44
	s_and_not1_b32 vcc_lo, exec_lo, s1
	s_cbranch_vccnz .LBB0_9
; %bb.7:                                ;   in Loop: Header=BB0_6 Depth=1
	s_delay_alu instid0(VALU_DEP_2)
	v_mov_b64_e32 v[4:5], v[2:3]
	v_mov_b64_e32 v[6:7], v[0:1]
	s_mov_b32 s0, s2
.LBB0_8:                                ;   Parent Loop BB0_6 Depth=1
                                        ; =>  This Inner Loop Header: Depth=2
	global_load_b32 v12, v[6:7], off
	s_wait_xcnt 0x0
	v_add_nc_u64_e32 v[6:7], 4, v[6:7]
	s_add_co_i32 s0, s0, -1
	s_delay_alu instid0(SALU_CYCLE_1) | instskip(SKIP_2) | instid1(VALU_DEP_1)
	s_cmp_eq_u32 s0, 0
	s_wait_loadcnt 0x0
	v_mul_f32_e32 v12, v8, v12
	v_mul_f32_e32 v12, 0xbfb8aa3b, v12
	s_delay_alu instid0(VALU_DEP_1)
	v_exp_f32_e32 v12, v12
	global_store_b32 v[4:5], v12, off
	s_wait_xcnt 0x0
	v_add_nc_u64_e32 v[4:5], 4, v[4:5]
	v_add_f32_e32 v11, v11, v12
	s_cbranch_scc0 .LBB0_8
.LBB0_9:                                ;   in Loop: Header=BB0_6 Depth=1
	s_and_not1_b32 vcc_lo, exec_lo, s1
	s_cbranch_vccnz .LBB0_12
; %bb.10:                               ;   in Loop: Header=BB0_6 Depth=1
	s_delay_alu instid0(VALU_DEP_1) | instskip(SKIP_4) | instid1(TRANS32_DEP_1)
	v_div_scale_f32 v4, null, v11, v11, 1.0
	v_div_scale_f32 v7, vcc_lo, 1.0, v11, 1.0
	s_mov_b32 s0, s2
	v_rcp_f32_e32 v5, v4
	v_nop
	v_fma_f32 v6, -v4, v5, 1.0
	s_delay_alu instid0(VALU_DEP_1) | instskip(NEXT) | instid1(VALU_DEP_1)
	v_fmac_f32_e32 v5, v6, v5
	v_mul_f32_e32 v6, v7, v5
	s_delay_alu instid0(VALU_DEP_1) | instskip(NEXT) | instid1(VALU_DEP_1)
	v_fma_f32 v12, -v4, v6, v7
	v_dual_fmac_f32 v6, v12, v5 :: v_dual_mov_b32 v12, 0
	s_delay_alu instid0(VALU_DEP_1) | instskip(NEXT) | instid1(VALU_DEP_1)
	v_fma_f32 v4, -v4, v6, v7
	v_div_fmas_f32 v6, v4, v5, v6
	v_mov_b64_e32 v[4:5], v[0:1]
	s_delay_alu instid0(VALU_DEP_2)
	v_div_fixup_f32 v13, v6, v11, 1.0
	v_mov_b64_e32 v[6:7], v[2:3]
.LBB0_11:                               ;   Parent Loop BB0_6 Depth=1
                                        ; =>  This Inner Loop Header: Depth=2
	global_load_b32 v14, v[6:7], off
	global_load_b32 v15, v[4:5], off
	s_wait_xcnt 0x0
	v_add_nc_u64_e32 v[4:5], 4, v[4:5]
	s_add_co_i32 s0, s0, -1
	s_delay_alu instid0(SALU_CYCLE_1)
	s_cmp_eq_u32 s0, 0
	s_wait_loadcnt 0x1
	v_mul_f32_e32 v14, v13, v14
	global_store_b32 v[6:7], v14, off
	s_wait_xcnt 0x0
	v_add_nc_u64_e32 v[6:7], 4, v[6:7]
	s_wait_loadcnt 0x0
	v_fmac_f32_e32 v12, v14, v15
	s_cbranch_scc0 .LBB0_11
	s_branch .LBB0_13
.LBB0_12:                               ;   in Loop: Header=BB0_6 Depth=1
	v_mov_b32_e32 v12, 0
.LBB0_13:                               ;   in Loop: Header=BB0_6 Depth=1
	v_cmp_gt_f32_e32 vcc_lo, 0x800000, v11
	s_mov_b32 s8, -1
	v_cndmask_b32_e64 v4, 0, 32, vcc_lo
	s_delay_alu instid0(VALU_DEP_1) | instskip(NEXT) | instid1(VALU_DEP_1)
	v_ldexp_f32 v4, v11, v4
	v_log_f32_e32 v4, v4
	v_nop
	s_delay_alu instid0(TRANS32_DEP_1) | instskip(SKIP_1) | instid1(VALU_DEP_2)
	v_mul_f32_e32 v5, 0x3f317217, v4
	v_cmp_gt_f32_e64 s0, 0x7f800000, |v4|
	v_fma_f32 v5, 0x3f317217, v4, -v5
	s_delay_alu instid0(VALU_DEP_1) | instskip(NEXT) | instid1(VALU_DEP_1)
	v_fmac_f32_e32 v5, 0x3377d1cf, v4
	v_fmac_f32_e32 v5, 0x3f317217, v4
	s_delay_alu instid0(VALU_DEP_1) | instskip(SKIP_2) | instid1(VALU_DEP_1)
	v_cndmask_b32_e64 v4, v4, v5, s0
	v_cndmask_b32_e64 v5, 0, 0x41b17218, vcc_lo
	s_mov_b32 s0, exec_lo
	v_sub_f32_e32 v4, v4, v5
	s_delay_alu instid0(VALU_DEP_1) | instskip(NEXT) | instid1(VALU_DEP_1)
	v_fmac_f32_e32 v4, v8, v12
	v_subrev_f32_e32 v4, s4, v4
	s_delay_alu instid0(VALU_DEP_1)
	v_cmpx_nle_f32_e64 |v4|, s6
	s_cbranch_execz .LBB0_5
; %bb.14:                               ;   in Loop: Header=BB0_6 Depth=1
	v_cmp_nlt_f32_e32 vcc_lo, 0, v4
                                        ; implicit-def: $vgpr4
	s_and_saveexec_b32 s8, vcc_lo
	s_delay_alu instid0(SALU_CYCLE_1)
	s_xor_b32 s8, exec_lo, s8
	s_cbranch_execz .LBB0_20
; %bb.15:                               ;   in Loop: Header=BB0_6 Depth=1
	v_cmp_neq_f32_e64 s9, 0x7f800000, |v9|
                                        ; implicit-def: $vgpr4
	s_and_saveexec_b32 s10, s9
	s_delay_alu instid0(SALU_CYCLE_1)
	s_xor_b32 s9, exec_lo, s10
; %bb.16:                               ;   in Loop: Header=BB0_6 Depth=1
	v_add_f32_e32 v4, v8, v9
	s_delay_alu instid0(VALU_DEP_1)
	v_mul_f32_e32 v4, 0.5, v4
; %bb.17:                               ;   in Loop: Header=BB0_6 Depth=1
	s_and_not1_saveexec_b32 s9, s9
; %bb.18:                               ;   in Loop: Header=BB0_6 Depth=1
	v_mul_f32_e32 v4, 0.5, v8
; %bb.19:                               ;   in Loop: Header=BB0_6 Depth=1
	s_or_b32 exec_lo, exec_lo, s9
                                        ; implicit-def: $vgpr10
.LBB0_20:                               ;   in Loop: Header=BB0_6 Depth=1
	s_or_saveexec_b32 s8, s8
	v_mov_b32_e32 v5, v8
	s_xor_b32 exec_lo, exec_lo, s8
	s_cbranch_execz .LBB0_4
; %bb.21:                               ;   in Loop: Header=BB0_6 Depth=1
	v_cmp_neq_f32_e64 s9, 0x7f800000, |v10|
                                        ; implicit-def: $vgpr4
	s_and_saveexec_b32 s10, s9
	s_delay_alu instid0(SALU_CYCLE_1)
	s_xor_b32 s9, exec_lo, s10
; %bb.22:                               ;   in Loop: Header=BB0_6 Depth=1
	v_add_f32_e32 v4, v8, v10
	s_delay_alu instid0(VALU_DEP_1)
	v_mul_f32_e32 v4, 0.5, v4
; %bb.23:                               ;   in Loop: Header=BB0_6 Depth=1
	s_and_not1_saveexec_b32 s9, s9
	s_cbranch_execz .LBB0_3
; %bb.24:                               ;   in Loop: Header=BB0_6 Depth=1
	v_add_f32_e32 v4, v8, v8
	s_branch .LBB0_3
.LBB0_25:
	s_endpgm
	.section	.rodata,"a",@progbits
	.p2align	6, 0x0
	.amdhsa_kernel _Z13sigmas_kernelIifEvPKT0_PS0_ffifT_i
		.amdhsa_group_segment_fixed_size 0
		.amdhsa_private_segment_fixed_size 0
		.amdhsa_kernarg_size 296
		.amdhsa_user_sgpr_count 2
		.amdhsa_user_sgpr_dispatch_ptr 0
		.amdhsa_user_sgpr_queue_ptr 0
		.amdhsa_user_sgpr_kernarg_segment_ptr 1
		.amdhsa_user_sgpr_dispatch_id 0
		.amdhsa_user_sgpr_kernarg_preload_length 0
		.amdhsa_user_sgpr_kernarg_preload_offset 0
		.amdhsa_user_sgpr_private_segment_size 0
		.amdhsa_wavefront_size32 1
		.amdhsa_uses_dynamic_stack 0
		.amdhsa_enable_private_segment 0
		.amdhsa_system_sgpr_workgroup_id_x 1
		.amdhsa_system_sgpr_workgroup_id_y 0
		.amdhsa_system_sgpr_workgroup_id_z 0
		.amdhsa_system_sgpr_workgroup_info 0
		.amdhsa_system_vgpr_workitem_id 0
		.amdhsa_next_free_vgpr 16
		.amdhsa_next_free_sgpr 12
		.amdhsa_named_barrier_count 0
		.amdhsa_reserve_vcc 1
		.amdhsa_float_round_mode_32 0
		.amdhsa_float_round_mode_16_64 0
		.amdhsa_float_denorm_mode_32 3
		.amdhsa_float_denorm_mode_16_64 3
		.amdhsa_fp16_overflow 0
		.amdhsa_memory_ordered 1
		.amdhsa_forward_progress 1
		.amdhsa_inst_pref_size 8
		.amdhsa_round_robin_scheduling 0
		.amdhsa_exception_fp_ieee_invalid_op 0
		.amdhsa_exception_fp_denorm_src 0
		.amdhsa_exception_fp_ieee_div_zero 0
		.amdhsa_exception_fp_ieee_overflow 0
		.amdhsa_exception_fp_ieee_underflow 0
		.amdhsa_exception_fp_ieee_inexact 0
		.amdhsa_exception_int_div_zero 0
	.end_amdhsa_kernel
	.section	.text._Z13sigmas_kernelIifEvPKT0_PS0_ffifT_i,"axG",@progbits,_Z13sigmas_kernelIifEvPKT0_PS0_ffifT_i,comdat
.Lfunc_end0:
	.size	_Z13sigmas_kernelIifEvPKT0_PS0_ffifT_i, .Lfunc_end0-_Z13sigmas_kernelIifEvPKT0_PS0_ffifT_i
                                        ; -- End function
	.set _Z13sigmas_kernelIifEvPKT0_PS0_ffifT_i.num_vgpr, 16
	.set _Z13sigmas_kernelIifEvPKT0_PS0_ffifT_i.num_agpr, 0
	.set _Z13sigmas_kernelIifEvPKT0_PS0_ffifT_i.numbered_sgpr, 12
	.set _Z13sigmas_kernelIifEvPKT0_PS0_ffifT_i.num_named_barrier, 0
	.set _Z13sigmas_kernelIifEvPKT0_PS0_ffifT_i.private_seg_size, 0
	.set _Z13sigmas_kernelIifEvPKT0_PS0_ffifT_i.uses_vcc, 1
	.set _Z13sigmas_kernelIifEvPKT0_PS0_ffifT_i.uses_flat_scratch, 0
	.set _Z13sigmas_kernelIifEvPKT0_PS0_ffifT_i.has_dyn_sized_stack, 0
	.set _Z13sigmas_kernelIifEvPKT0_PS0_ffifT_i.has_recursion, 0
	.set _Z13sigmas_kernelIifEvPKT0_PS0_ffifT_i.has_indirect_call, 0
	.section	.AMDGPU.csdata,"",@progbits
; Kernel info:
; codeLenInByte = 912
; TotalNumSgprs: 14
; NumVgprs: 16
; ScratchSize: 0
; MemoryBound: 0
; FloatMode: 240
; IeeeMode: 1
; LDSByteSize: 0 bytes/workgroup (compile time only)
; SGPRBlocks: 0
; VGPRBlocks: 0
; NumSGPRsForWavesPerEU: 14
; NumVGPRsForWavesPerEU: 16
; NamedBarCnt: 0
; Occupancy: 16
; WaveLimiterHint : 0
; COMPUTE_PGM_RSRC2:SCRATCH_EN: 0
; COMPUTE_PGM_RSRC2:USER_SGPR: 2
; COMPUTE_PGM_RSRC2:TRAP_HANDLER: 0
; COMPUTE_PGM_RSRC2:TGID_X_EN: 1
; COMPUTE_PGM_RSRC2:TGID_Y_EN: 0
; COMPUTE_PGM_RSRC2:TGID_Z_EN: 0
; COMPUTE_PGM_RSRC2:TIDIG_COMP_CNT: 0
	.section	.AMDGPU.gpr_maximums,"",@progbits
	.set amdgpu.max_num_vgpr, 0
	.set amdgpu.max_num_agpr, 0
	.set amdgpu.max_num_sgpr, 0
	.section	.AMDGPU.csdata,"",@progbits
	.type	__hip_cuid_7dfc5c1d4e8386e4,@object ; @__hip_cuid_7dfc5c1d4e8386e4
	.section	.bss,"aw",@nobits
	.globl	__hip_cuid_7dfc5c1d4e8386e4
__hip_cuid_7dfc5c1d4e8386e4:
	.byte	0                               ; 0x0
	.size	__hip_cuid_7dfc5c1d4e8386e4, 1

	.ident	"AMD clang version 22.0.0git (https://github.com/RadeonOpenCompute/llvm-project roc-7.2.4 26084 f58b06dce1f9c15707c5f808fd002e18c2accf7e)"
	.section	".note.GNU-stack","",@progbits
	.addrsig
	.addrsig_sym __hip_cuid_7dfc5c1d4e8386e4
	.amdgpu_metadata
---
amdhsa.kernels:
  - .args:
      - .actual_access:  read_only
        .address_space:  global
        .offset:         0
        .size:           8
        .value_kind:     global_buffer
      - .address_space:  global
        .offset:         8
        .size:           8
        .value_kind:     global_buffer
      - .offset:         16
        .size:           4
        .value_kind:     by_value
      - .offset:         20
        .size:           4
        .value_kind:     by_value
      - .offset:         24
        .size:           4
        .value_kind:     by_value
      - .offset:         28
        .size:           4
        .value_kind:     by_value
      - .offset:         32
        .size:           4
        .value_kind:     by_value
      - .offset:         36
        .size:           4
        .value_kind:     by_value
      - .offset:         40
        .size:           4
        .value_kind:     hidden_block_count_x
      - .offset:         44
        .size:           4
        .value_kind:     hidden_block_count_y
      - .offset:         48
        .size:           4
        .value_kind:     hidden_block_count_z
      - .offset:         52
        .size:           2
        .value_kind:     hidden_group_size_x
      - .offset:         54
        .size:           2
        .value_kind:     hidden_group_size_y
      - .offset:         56
        .size:           2
        .value_kind:     hidden_group_size_z
      - .offset:         58
        .size:           2
        .value_kind:     hidden_remainder_x
      - .offset:         60
        .size:           2
        .value_kind:     hidden_remainder_y
      - .offset:         62
        .size:           2
        .value_kind:     hidden_remainder_z
      - .offset:         80
        .size:           8
        .value_kind:     hidden_global_offset_x
      - .offset:         88
        .size:           8
        .value_kind:     hidden_global_offset_y
      - .offset:         96
        .size:           8
        .value_kind:     hidden_global_offset_z
      - .offset:         104
        .size:           2
        .value_kind:     hidden_grid_dims
    .group_segment_fixed_size: 0
    .kernarg_segment_align: 8
    .kernarg_segment_size: 296
    .language:       OpenCL C
    .language_version:
      - 2
      - 0
    .max_flat_workgroup_size: 1024
    .name:           _Z13sigmas_kernelIifEvPKT0_PS0_ffifT_i
    .private_segment_fixed_size: 0
    .sgpr_count:     14
    .sgpr_spill_count: 0
    .symbol:         _Z13sigmas_kernelIifEvPKT0_PS0_ffifT_i.kd
    .uniform_work_group_size: 1
    .uses_dynamic_stack: false
    .vgpr_count:     16
    .vgpr_spill_count: 0
    .wavefront_size: 32
amdhsa.target:   amdgcn-amd-amdhsa--gfx1250
amdhsa.version:
  - 1
  - 2
...

	.end_amdgpu_metadata
